;; amdgpu-corpus repo=ROCm/rocFFT kind=compiled arch=gfx906 opt=O3
	.text
	.amdgcn_target "amdgcn-amd-amdhsa--gfx906"
	.amdhsa_code_object_version 6
	.protected	bluestein_single_back_len1125_dim1_dp_op_CI_CI ; -- Begin function bluestein_single_back_len1125_dim1_dp_op_CI_CI
	.globl	bluestein_single_back_len1125_dim1_dp_op_CI_CI
	.p2align	8
	.type	bluestein_single_back_len1125_dim1_dp_op_CI_CI,@function
bluestein_single_back_len1125_dim1_dp_op_CI_CI: ; @bluestein_single_back_len1125_dim1_dp_op_CI_CI
; %bb.0:
	s_load_dwordx4 s[16:19], s[4:5], 0x28
	v_mul_u32_u24_e32 v1, 0x124, v0
	v_add_u32_sdwa v92, s6, v1 dst_sel:DWORD dst_unused:UNUSED_PAD src0_sel:DWORD src1_sel:WORD_1
	v_mov_b32_e32 v93, 0
	s_waitcnt lgkmcnt(0)
	v_cmp_gt_u64_e32 vcc, s[16:17], v[92:93]
	s_and_saveexec_b64 s[0:1], vcc
	s_cbranch_execz .LBB0_18
; %bb.1:
	s_load_dwordx4 s[0:3], s[4:5], 0x18
	s_load_dwordx4 s[12:15], s[4:5], 0x0
	s_mov_b32 s20, 0x134454ff
	s_mov_b32 s21, 0x3fee6f0e
	;; [unrolled: 1-line block ×3, first 2 shown]
	s_waitcnt lgkmcnt(0)
	s_load_dwordx4 s[8:11], s[0:1], 0x0
	s_movk_i32 s0, 0xe1
	v_mul_lo_u16_sdwa v1, v1, s0 dst_sel:DWORD dst_unused:UNUSED_PAD src0_sel:WORD_1 src1_sel:DWORD
	v_sub_u16_e32 v94, v0, v1
	v_lshlrev_b32_e32 v93, 4, v94
	s_waitcnt lgkmcnt(0)
	v_mad_u64_u32 v[0:1], s[0:1], s10, v92, 0
	v_mad_u64_u32 v[2:3], s[0:1], s8, v94, 0
	s_mul_i32 s6, s9, 0xe10
	s_mul_hi_u32 s7, s8, 0xe10
	v_mad_u64_u32 v[4:5], s[0:1], s11, v92, v[1:2]
	s_add_i32 s6, s7, s6
	s_mul_i32 s7, s8, 0xe10
	v_mad_u64_u32 v[5:6], s[0:1], s9, v94, v[3:4]
	v_mov_b32_e32 v1, v4
	v_lshlrev_b64 v[0:1], 4, v[0:1]
	v_mov_b32_e32 v6, s19
	v_mov_b32_e32 v3, v5
	v_add_co_u32_e32 v4, vcc, s18, v0
	v_addc_co_u32_e32 v5, vcc, v6, v1, vcc
	v_lshlrev_b64 v[0:1], 4, v[2:3]
	v_mov_b32_e32 v2, s13
	v_add_co_u32_e32 v0, vcc, v4, v0
	v_add_co_u32_e64 v95, s[0:1], s12, v93
	v_addc_co_u32_e32 v1, vcc, v5, v1, vcc
	v_addc_co_u32_e64 v14, vcc, 0, v2, s[0:1]
	v_mov_b32_e32 v3, s6
	v_add_co_u32_e32 v2, vcc, s7, v0
	v_addc_co_u32_e32 v3, vcc, v1, v3, vcc
	global_load_dwordx4 v[20:23], v[0:1], off
	global_load_dwordx4 v[24:27], v[2:3], off
	global_load_dwordx4 v[16:19], v93, s[12:13]
	global_load_dwordx4 v[8:11], v93, s[12:13] offset:3600
	v_mov_b32_e32 v1, s6
	v_add_co_u32_e32 v0, vcc, s7, v2
	v_addc_co_u32_e32 v1, vcc, v3, v1, vcc
	s_movk_i32 s8, 0x1000
	v_add_co_u32_e32 v2, vcc, s8, v95
	v_addc_co_u32_e32 v3, vcc, 0, v14, vcc
	global_load_dwordx4 v[4:7], v[2:3], off offset:3104
	v_mov_b32_e32 v2, s6
	v_add_co_u32_e32 v12, vcc, s7, v0
	v_addc_co_u32_e32 v13, vcc, v1, v2, vcc
	s_movk_i32 s8, 0x2000
	global_load_dwordx4 v[28:31], v[0:1], off
	v_add_co_u32_e32 v0, vcc, s8, v95
	v_addc_co_u32_e32 v1, vcc, 0, v14, vcc
	v_mov_b32_e32 v15, s6
	v_add_co_u32_e32 v40, vcc, s7, v12
	v_addc_co_u32_e32 v41, vcc, v13, v15, vcc
	s_movk_i32 s6, 0x3000
	v_add_co_u32_e32 v42, vcc, s6, v95
	global_load_dwordx4 v[32:35], v[12:13], off
	v_addc_co_u32_e32 v43, vcc, 0, v14, vcc
	global_load_dwordx4 v[0:3], v[0:1], off offset:2608
	s_nop 0
	global_load_dwordx4 v[12:15], v[42:43], off offset:2112
	global_load_dwordx4 v[36:39], v[40:41], off
	s_load_dwordx4 s[8:11], s[2:3], 0x0
	s_mov_b32 s6, 0x4755a5e
	s_mov_b32 s7, 0x3fe2cf23
	;; [unrolled: 1-line block ×7, first 2 shown]
	s_movk_i32 s2, 0xcd
	s_load_dwordx2 s[16:17], s[4:5], 0x38
	s_waitcnt vmcnt(7)
	v_mul_f64 v[40:41], v[22:23], v[18:19]
	v_mul_f64 v[42:43], v[20:21], v[18:19]
	s_waitcnt vmcnt(6)
	v_mul_f64 v[44:45], v[26:27], v[10:11]
	v_mul_f64 v[46:47], v[24:25], v[10:11]
	v_fma_f64 v[20:21], v[20:21], v[16:17], v[40:41]
	v_fma_f64 v[22:23], v[22:23], v[16:17], -v[42:43]
	v_fma_f64 v[24:25], v[24:25], v[8:9], v[44:45]
	v_fma_f64 v[26:27], v[26:27], v[8:9], -v[46:47]
	s_waitcnt vmcnt(4)
	v_mul_f64 v[48:49], v[30:31], v[6:7]
	v_mul_f64 v[50:51], v[28:29], v[6:7]
	v_fma_f64 v[28:29], v[28:29], v[4:5], v[48:49]
	v_fma_f64 v[30:31], v[30:31], v[4:5], -v[50:51]
	s_waitcnt vmcnt(2)
	v_mul_f64 v[52:53], v[34:35], v[2:3]
	v_mul_f64 v[54:55], v[32:33], v[2:3]
	s_waitcnt vmcnt(0)
	v_mul_f64 v[56:57], v[38:39], v[14:15]
	v_mul_f64 v[58:59], v[36:37], v[14:15]
	v_fma_f64 v[32:33], v[32:33], v[0:1], v[52:53]
	v_fma_f64 v[34:35], v[34:35], v[0:1], -v[54:55]
	v_fma_f64 v[36:37], v[36:37], v[12:13], v[56:57]
	v_fma_f64 v[38:39], v[38:39], v[12:13], -v[58:59]
	ds_write_b128 v93, v[20:23]
	ds_write_b128 v93, v[24:27] offset:3600
	ds_write_b128 v93, v[28:31] offset:7200
	;; [unrolled: 1-line block ×4, first 2 shown]
	s_waitcnt lgkmcnt(0)
	s_barrier
	ds_read_b128 v[20:23], v93
	ds_read_b128 v[24:27], v93 offset:3600
	ds_read_b128 v[28:31], v93 offset:7200
	;; [unrolled: 1-line block ×4, first 2 shown]
	s_waitcnt lgkmcnt(0)
	v_add_f64 v[40:41], v[20:21], v[24:25]
	v_add_f64 v[48:49], v[24:25], -v[28:29]
	v_add_f64 v[42:43], v[28:29], v[32:33]
	v_add_f64 v[44:45], v[26:27], -v[38:39]
	;; [unrolled: 2-line block ×3, first 2 shown]
	v_add_f64 v[50:51], v[36:37], -v[32:33]
	v_add_f64 v[54:55], v[28:29], -v[24:25]
	v_add_f64 v[56:57], v[32:33], -v[36:37]
	v_add_f64 v[60:61], v[30:31], v[34:35]
	v_fma_f64 v[42:43], v[42:43], -0.5, v[20:21]
	v_add_f64 v[62:63], v[24:25], -v[36:37]
	v_add_f64 v[24:25], v[40:41], v[28:29]
	v_fma_f64 v[20:21], v[52:53], -0.5, v[20:21]
	v_add_f64 v[52:53], v[26:27], v[38:39]
	v_add_f64 v[58:59], v[22:23], v[26:27]
	;; [unrolled: 1-line block ×4, first 2 shown]
	v_fma_f64 v[40:41], v[44:45], s[20:21], v[42:43]
	v_fma_f64 v[54:55], v[60:61], -0.5, v[22:23]
	v_add_f64 v[24:25], v[24:25], v[32:33]
	v_add_f64 v[64:65], v[28:29], -v[32:33]
	v_fma_f64 v[32:33], v[44:45], s[24:25], v[42:43]
	v_fma_f64 v[22:23], v[52:53], -0.5, v[22:23]
	v_fma_f64 v[42:43], v[46:47], s[24:25], v[20:21]
	v_add_f64 v[56:57], v[58:59], v[30:31]
	v_fma_f64 v[40:41], v[46:47], s[6:7], v[40:41]
	v_add_f64 v[28:29], v[26:27], -v[30:31]
	v_fma_f64 v[52:53], v[46:47], s[20:21], v[20:21]
	v_fma_f64 v[58:59], v[62:63], s[24:25], v[54:55]
	v_add_f64 v[20:21], v[24:25], v[36:37]
	v_fma_f64 v[32:33], v[46:47], s[22:23], v[32:33]
	v_fma_f64 v[46:47], v[64:65], s[20:21], v[22:23]
	v_add_f64 v[26:27], v[30:31], -v[26:27]
	v_fma_f64 v[24:25], v[48:49], s[18:19], v[40:41]
	v_add_f64 v[40:41], v[38:39], -v[34:35]
	v_add_f64 v[30:31], v[34:35], -v[38:39]
	v_fma_f64 v[22:23], v[64:65], s[24:25], v[22:23]
	v_fma_f64 v[36:37], v[44:45], s[6:7], v[42:43]
	;; [unrolled: 1-line block ×3, first 2 shown]
	v_add_f64 v[34:35], v[56:57], v[34:35]
	v_fma_f64 v[44:45], v[44:45], s[22:23], v[52:53]
	v_fma_f64 v[52:53], v[64:65], s[22:23], v[58:59]
	v_add_f64 v[40:41], v[28:29], v[40:41]
	v_fma_f64 v[46:47], v[62:63], s[22:23], v[46:47]
	v_add_f64 v[54:55], v[26:27], v[30:31]
	v_fma_f64 v[56:57], v[62:63], s[6:7], v[22:23]
	v_fma_f64 v[42:43], v[64:65], s[6:7], v[42:43]
	v_add_f64 v[22:23], v[34:35], v[38:39]
	v_fma_f64 v[28:29], v[48:49], s[18:19], v[32:33]
	v_fma_f64 v[32:33], v[50:51], s[18:19], v[36:37]
	;; [unrolled: 1-line block ×7, first 2 shown]
	v_mul_lo_u16_e32 v40, 5, v94
	v_lshlrev_b32_e32 v96, 4, v40
	s_barrier
	ds_write_b128 v96, v[20:23]
	ds_write_b128 v96, v[24:27] offset:16
	ds_write_b128 v96, v[32:35] offset:32
	;; [unrolled: 1-line block ×4, first 2 shown]
	v_mul_lo_u16_sdwa v20, v94, s2 dst_sel:DWORD dst_unused:UNUSED_PAD src0_sel:BYTE_0 src1_sel:DWORD
	v_lshrrev_b16_e32 v72, 10, v20
	v_mul_lo_u16_e32 v20, 5, v72
	v_sub_u16_e32 v20, v94, v20
	v_and_b32_e32 v73, 0xff, v20
	v_lshlrev_b32_e32 v36, 6, v73
	s_waitcnt lgkmcnt(0)
	s_barrier
	global_load_dwordx4 v[32:35], v36, s[14:15]
	global_load_dwordx4 v[28:31], v36, s[14:15] offset:16
	global_load_dwordx4 v[24:27], v36, s[14:15] offset:32
	;; [unrolled: 1-line block ×3, first 2 shown]
	ds_read_b128 v[36:39], v93 offset:3600
	ds_read_b128 v[40:43], v93 offset:7200
	;; [unrolled: 1-line block ×4, first 2 shown]
	ds_read_b128 v[52:55], v93
	s_waitcnt vmcnt(0) lgkmcnt(0)
	s_barrier
	s_movk_i32 s2, 0x96
	v_cmp_gt_u16_e32 vcc, s2, v94
	v_mul_f64 v[56:57], v[38:39], v[34:35]
	v_mul_f64 v[58:59], v[36:37], v[34:35]
	;; [unrolled: 1-line block ×8, first 2 shown]
	v_fma_f64 v[36:37], v[36:37], v[32:33], -v[56:57]
	v_fma_f64 v[38:39], v[38:39], v[32:33], v[58:59]
	v_fma_f64 v[40:41], v[40:41], v[28:29], -v[60:61]
	v_fma_f64 v[42:43], v[42:43], v[28:29], v[62:63]
	v_fma_f64 v[44:45], v[44:45], v[24:25], -v[64:65]
	v_fma_f64 v[48:49], v[48:49], v[20:21], -v[66:67]
	v_fma_f64 v[46:47], v[46:47], v[24:25], v[68:69]
	v_fma_f64 v[50:51], v[50:51], v[20:21], v[70:71]
	v_mul_u32_u24_e32 v56, 25, v72
	v_add_lshl_u32 v97, v56, v73, 4
	v_add_f64 v[64:65], v[52:53], v[36:37]
	v_add_f64 v[72:73], v[54:55], v[38:39]
	;; [unrolled: 1-line block ×6, first 2 shown]
	v_add_f64 v[66:67], v[36:37], -v[40:41]
	v_add_f64 v[68:69], v[48:49], -v[44:45]
	;; [unrolled: 1-line block ×9, first 2 shown]
	v_fma_f64 v[36:37], v[56:57], -0.5, v[52:53]
	v_fma_f64 v[52:53], v[58:59], -0.5, v[52:53]
	v_add_f64 v[40:41], v[64:65], v[40:41]
	v_fma_f64 v[56:57], v[60:61], -0.5, v[54:55]
	v_add_f64 v[42:43], v[72:73], v[42:43]
	v_fma_f64 v[54:55], v[62:63], -0.5, v[54:55]
	v_add_f64 v[74:75], v[44:45], -v[48:49]
	v_add_f64 v[78:79], v[50:51], -v[46:47]
	;; [unrolled: 1-line block ×3, first 2 shown]
	v_add_f64 v[58:59], v[66:67], v[68:69]
	v_add_f64 v[40:41], v[40:41], v[44:45]
	v_fma_f64 v[44:45], v[38:39], s[20:21], v[36:37]
	v_add_f64 v[42:43], v[42:43], v[46:47]
	v_fma_f64 v[46:47], v[84:85], s[24:25], v[52:53]
	v_fma_f64 v[52:53], v[84:85], s[20:21], v[52:53]
	;; [unrolled: 1-line block ×7, first 2 shown]
	v_add_f64 v[62:63], v[76:77], v[78:79]
	v_fma_f64 v[44:45], v[84:85], s[6:7], v[44:45]
	v_fma_f64 v[46:47], v[38:39], s[6:7], v[46:47]
	;; [unrolled: 1-line block ×3, first 2 shown]
	v_add_f64 v[38:39], v[42:43], v[50:51]
	v_fma_f64 v[42:43], v[88:89], s[22:23], v[66:67]
	v_add_f64 v[60:61], v[70:71], v[74:75]
	v_add_f64 v[64:65], v[80:81], v[82:83]
	v_fma_f64 v[70:71], v[84:85], s[22:23], v[36:37]
	v_add_f64 v[36:37], v[40:41], v[48:49]
	v_fma_f64 v[48:49], v[86:87], s[22:23], v[68:69]
	v_fma_f64 v[50:51], v[86:87], s[6:7], v[54:55]
	;; [unrolled: 1-line block ×11, first 2 shown]
	ds_write_b128 v97, v[36:39]
	ds_write_b128 v97, v[40:43] offset:80
	ds_write_b128 v97, v[44:47] offset:160
	;; [unrolled: 1-line block ×4, first 2 shown]
	s_waitcnt lgkmcnt(0)
	s_barrier
	ds_read_b128 v[60:63], v93
	ds_read_b128 v[72:75], v93 offset:6000
	ds_read_b128 v[68:71], v93 offset:12000
                                        ; implicit-def: $vgpr64_vgpr65
	s_and_saveexec_b64 s[2:3], vcc
	s_cbranch_execz .LBB0_3
; %bb.2:
	ds_read_b128 v[52:55], v93 offset:3600
	ds_read_b128 v[56:59], v93 offset:9600
	;; [unrolled: 1-line block ×3, first 2 shown]
.LBB0_3:
	s_or_b64 exec, exec, s[2:3]
	v_mov_b32_e32 v36, 41
	v_mul_lo_u16_sdwa v36, v94, v36 dst_sel:DWORD dst_unused:UNUSED_PAD src0_sel:BYTE_0 src1_sel:DWORD
	v_lshrrev_b16_e32 v100, 10, v36
	v_mul_lo_u16_e32 v36, 25, v100
	v_sub_u16_e32 v36, v94, v36
	v_and_b32_e32 v106, 0xff, v36
	v_lshlrev_b32_e32 v44, 5, v106
	v_add_u16_e32 v101, 0xe1, v94
	global_load_dwordx4 v[36:39], v44, s[14:15] offset:336
	global_load_dwordx4 v[40:43], v44, s[14:15] offset:320
	v_mul_u32_u24_e32 v44, 0x47af, v101
	v_sub_u16_sdwa v45, v101, v44 dst_sel:DWORD dst_unused:UNUSED_PAD src0_sel:DWORD src1_sel:WORD_1
	v_lshrrev_b16_e32 v45, 1, v45
	v_add_u16_sdwa v44, v45, v44 dst_sel:DWORD dst_unused:UNUSED_PAD src0_sel:DWORD src1_sel:WORD_1
	v_lshrrev_b16_e32 v98, 4, v44
	v_mul_lo_u16_e32 v44, 25, v98
	v_sub_u16_e32 v99, v101, v44
	v_lshlrev_b16_e32 v44, 5, v99
	v_mov_b32_e32 v45, s15
	v_add_co_u32_e64 v76, s[2:3], s14, v44
	v_addc_co_u32_e64 v77, s[2:3], 0, v45, s[2:3]
	global_load_dwordx4 v[48:51], v[76:77], off offset:320
	global_load_dwordx4 v[44:47], v[76:77], off offset:336
	s_mov_b32 s2, 0xe8584caa
	s_mov_b32 s3, 0x3febb67a
	;; [unrolled: 1-line block ×4, first 2 shown]
	s_waitcnt vmcnt(0) lgkmcnt(0)
	s_barrier
	v_mul_f64 v[82:83], v[68:69], v[38:39]
	v_mul_f64 v[76:77], v[74:75], v[42:43]
	;; [unrolled: 1-line block ×4, first 2 shown]
	v_fma_f64 v[70:71], v[70:71], v[36:37], v[82:83]
	v_fma_f64 v[72:73], v[72:73], v[40:41], -v[76:77]
	v_fma_f64 v[74:75], v[74:75], v[40:41], v[78:79]
	v_fma_f64 v[68:69], v[68:69], v[36:37], -v[80:81]
	v_mul_f64 v[84:85], v[58:59], v[50:51]
	v_mul_f64 v[86:87], v[56:57], v[50:51]
	;; [unrolled: 1-line block ×4, first 2 shown]
	v_add_f64 v[76:77], v[60:61], v[72:73]
	v_add_f64 v[80:81], v[74:75], -v[70:71]
	v_add_f64 v[82:83], v[62:63], v[74:75]
	v_add_f64 v[74:75], v[74:75], v[70:71]
	v_fma_f64 v[56:57], v[56:57], v[48:49], -v[84:85]
	v_fma_f64 v[58:59], v[58:59], v[48:49], v[86:87]
	v_fma_f64 v[64:65], v[64:65], v[44:45], -v[88:89]
	v_fma_f64 v[66:67], v[66:67], v[44:45], v[90:91]
	v_add_f64 v[78:79], v[72:73], v[68:69]
	v_add_f64 v[72:73], v[72:73], -v[68:69]
	v_fma_f64 v[62:63], v[74:75], -0.5, v[62:63]
	v_add_f64 v[84:85], v[52:53], v[56:57]
	v_add_f64 v[90:91], v[54:55], v[58:59]
	;; [unrolled: 1-line block ×4, first 2 shown]
	v_add_f64 v[88:89], v[58:59], -v[66:67]
	v_add_f64 v[104:105], v[56:57], -v[64:65]
	v_add_f64 v[56:57], v[76:77], v[68:69]
	v_fma_f64 v[60:61], v[78:79], -0.5, v[60:61]
	v_add_f64 v[68:69], v[84:85], v[64:65]
	v_add_f64 v[58:59], v[82:83], v[70:71]
	v_fma_f64 v[74:75], v[86:87], -0.5, v[52:53]
	v_fma_f64 v[64:65], v[102:103], -0.5, v[54:55]
	v_add_f64 v[70:71], v[90:91], v[66:67]
	v_fma_f64 v[54:55], v[72:73], s[4:5], v[62:63]
	v_fma_f64 v[62:63], v[72:73], s[2:3], v[62:63]
	;; [unrolled: 1-line block ×8, first 2 shown]
	v_mul_u32_u24_e32 v64, 0x4b, v100
	s_movk_i32 s4, 0x4b
	v_add_lshl_u32 v102, v64, v106, 4
	ds_write_b128 v102, v[56:59]
	ds_write_b128 v102, v[52:55] offset:400
	ds_write_b128 v102, v[60:63] offset:800
	s_and_saveexec_b64 s[2:3], vcc
	s_cbranch_execz .LBB0_5
; %bb.4:
	v_mad_legacy_u16 v52, v98, s4, v99
	v_lshlrev_b32_e32 v52, 4, v52
	ds_write_b128 v52, v[68:71]
	ds_write_b128 v52, v[72:75] offset:400
	ds_write_b128 v52, v[76:79] offset:800
.LBB0_5:
	s_or_b64 exec, exec, s[2:3]
	s_waitcnt lgkmcnt(0)
	s_barrier
	ds_read_b128 v[80:83], v93
	ds_read_b128 v[88:91], v93 offset:6000
	ds_read_b128 v[84:87], v93 offset:12000
	s_and_saveexec_b64 s[2:3], vcc
	s_cbranch_execz .LBB0_7
; %bb.6:
	ds_read_b128 v[68:71], v93 offset:3600
	ds_read_b128 v[72:75], v93 offset:9600
	;; [unrolled: 1-line block ×3, first 2 shown]
.LBB0_7:
	s_or_b64 exec, exec, s[2:3]
	s_movk_i32 s2, 0xdb
	v_mul_lo_u16_sdwa v52, v94, s2 dst_sel:DWORD dst_unused:UNUSED_PAD src0_sel:BYTE_0 src1_sel:DWORD
	v_lshrrev_b16_e32 v125, 14, v52
	v_mul_lo_u16_e32 v52, 0x4b, v125
	v_sub_u16_e32 v52, v94, v52
	v_and_b32_e32 v126, 0xff, v52
	v_lshlrev_b32_e32 v52, 5, v126
	global_load_dwordx4 v[60:63], v52, s[14:15] offset:1136
	global_load_dwordx4 v[64:67], v52, s[14:15] offset:1120
	v_mul_u32_u24_e32 v52, 0xb4e9, v101
	v_sub_u16_sdwa v53, v101, v52 dst_sel:DWORD dst_unused:UNUSED_PAD src0_sel:DWORD src1_sel:WORD_1
	v_lshrrev_b16_e32 v53, 1, v53
	v_add_u16_sdwa v52, v53, v52 dst_sel:DWORD dst_unused:UNUSED_PAD src0_sel:DWORD src1_sel:WORD_1
	v_lshrrev_b16_e32 v100, 6, v52
	v_mul_lo_u16_e32 v52, 0x4b, v100
	v_sub_u16_e32 v101, v101, v52
	v_lshlrev_b16_e32 v52, 5, v101
	v_mov_b32_e32 v53, s15
	v_add_co_u32_e64 v103, s[2:3], s14, v52
	v_addc_co_u32_e64 v104, s[2:3], 0, v53, s[2:3]
	global_load_dwordx4 v[56:59], v[103:104], off offset:1120
	global_load_dwordx4 v[52:55], v[103:104], off offset:1136
	s_mov_b32 s2, 0xe8584caa
	s_mov_b32 s3, 0x3febb67a
	;; [unrolled: 1-line block ×3, first 2 shown]
	s_movk_i32 s6, 0xe1
	s_waitcnt vmcnt(0) lgkmcnt(0)
	s_barrier
	v_mul_f64 v[107:108], v[86:87], v[62:63]
	v_mul_f64 v[103:104], v[90:91], v[66:67]
	;; [unrolled: 1-line block ×4, first 2 shown]
	v_fma_f64 v[84:85], v[84:85], v[60:61], -v[107:108]
	v_fma_f64 v[103:104], v[88:89], v[64:65], -v[103:104]
	v_fma_f64 v[105:106], v[90:91], v[64:65], v[105:106]
	v_fma_f64 v[86:87], v[86:87], v[60:61], v[109:110]
	v_mul_f64 v[111:112], v[74:75], v[58:59]
	v_mul_f64 v[113:114], v[72:73], v[58:59]
	;; [unrolled: 1-line block ×4, first 2 shown]
	v_add_f64 v[107:108], v[80:81], v[103:104]
	v_add_f64 v[109:110], v[105:106], v[86:87]
	v_add_f64 v[119:120], v[103:104], -v[84:85]
	v_fma_f64 v[88:89], v[72:73], v[56:57], -v[111:112]
	v_fma_f64 v[90:91], v[74:75], v[56:57], v[113:114]
	v_fma_f64 v[72:73], v[76:77], v[52:53], -v[115:116]
	v_fma_f64 v[74:75], v[78:79], v[52:53], v[117:118]
	v_add_f64 v[76:77], v[103:104], v[84:85]
	v_add_f64 v[117:118], v[82:83], v[105:106]
	v_fma_f64 v[123:124], v[109:110], -0.5, v[82:83]
	v_add_f64 v[111:112], v[105:106], -v[86:87]
	v_add_f64 v[104:105], v[107:108], v[84:85]
	v_mul_u32_u24_e32 v103, 0xe1, v125
	v_add_f64 v[113:114], v[88:89], v[72:73]
	v_add_f64 v[115:116], v[90:91], v[74:75]
	v_fma_f64 v[121:122], v[76:77], -0.5, v[80:81]
	v_add_f64 v[78:79], v[90:91], -v[74:75]
	v_add_f64 v[82:83], v[88:89], -v[72:73]
	v_add_f64 v[106:107], v[117:118], v[86:87]
	v_add_lshl_u32 v103, v103, v126, 4
	v_fma_f64 v[76:77], v[113:114], -0.5, v[68:69]
	v_fma_f64 v[80:81], v[115:116], -0.5, v[70:71]
	v_fma_f64 v[108:109], v[111:112], s[2:3], v[121:122]
	v_fma_f64 v[112:113], v[111:112], s[4:5], v[121:122]
	;; [unrolled: 1-line block ×4, first 2 shown]
	ds_write_b128 v103, v[104:107]
	ds_write_b128 v103, v[108:111] offset:1200
	ds_write_b128 v103, v[112:115] offset:2400
	v_fma_f64 v[84:85], v[78:79], s[4:5], v[76:77]
	v_fma_f64 v[86:87], v[82:83], s[2:3], v[80:81]
	s_and_saveexec_b64 s[4:5], vcc
	s_cbranch_execz .LBB0_9
; %bb.8:
	v_add_f64 v[90:91], v[70:71], v[90:91]
	v_add_f64 v[68:69], v[68:69], v[88:89]
	v_mul_f64 v[82:83], v[82:83], s[2:3]
	v_mul_f64 v[78:79], v[78:79], s[2:3]
	v_add_f64 v[74:75], v[90:91], v[74:75]
	v_add_f64 v[72:73], v[68:69], v[72:73]
	v_add_f64 v[70:71], v[80:81], -v[82:83]
	v_add_f64 v[68:69], v[78:79], v[76:77]
	v_mad_legacy_u16 v76, v100, s6, v101
	v_lshlrev_b32_e32 v76, 4, v76
	ds_write_b128 v76, v[72:75]
	ds_write_b128 v76, v[68:71] offset:1200
	ds_write_b128 v76, v[84:87] offset:2400
.LBB0_9:
	s_or_b64 exec, exec, s[4:5]
	v_lshlrev_b32_e32 v88, 6, v94
	s_waitcnt lgkmcnt(0)
	s_barrier
	global_load_dwordx4 v[80:83], v88, s[14:15] offset:3520
	global_load_dwordx4 v[76:79], v88, s[14:15] offset:3536
	;; [unrolled: 1-line block ×4, first 2 shown]
	ds_read_b128 v[88:91], v93
	ds_read_b128 v[104:107], v93 offset:3600
	ds_read_b128 v[108:111], v93 offset:7200
	;; [unrolled: 1-line block ×4, first 2 shown]
	s_mov_b32 s18, 0x134454ff
	s_mov_b32 s19, 0x3fee6f0e
	;; [unrolled: 1-line block ×8, first 2 shown]
	v_mov_b32_e32 v120, s13
	s_mov_b32 s12, 0x372fe950
	s_mov_b32 s13, 0x3fd3c6ef
	s_movk_i32 s2, 0x4650
	s_movk_i32 s3, 0x4000
	v_addc_co_u32_e64 v159, s[0:1], 0, v120, s[0:1]
	v_add_co_u32_e64 v120, s[0:1], s2, v95
	v_add_co_u32_e64 v122, s[2:3], s3, v95
	v_addc_co_u32_e64 v121, s[0:1], 0, v159, s[0:1]
	s_movk_i32 s4, 0x6000
	s_movk_i32 s6, 0x7000
	s_waitcnt vmcnt(3) lgkmcnt(3)
	v_mul_f64 v[123:124], v[106:107], v[82:83]
	v_mul_f64 v[125:126], v[104:105], v[82:83]
	s_waitcnt vmcnt(2) lgkmcnt(2)
	v_mul_f64 v[127:128], v[110:111], v[78:79]
	v_mul_f64 v[129:130], v[108:109], v[78:79]
	;; [unrolled: 3-line block ×4, first 2 shown]
	v_fma_f64 v[104:105], v[104:105], v[80:81], -v[123:124]
	v_fma_f64 v[106:107], v[106:107], v[80:81], v[125:126]
	v_fma_f64 v[108:109], v[108:109], v[76:77], -v[127:128]
	v_fma_f64 v[110:111], v[110:111], v[76:77], v[129:130]
	;; [unrolled: 2-line block ×4, first 2 shown]
	v_add_f64 v[127:128], v[88:89], v[104:105]
	v_add_f64 v[145:146], v[90:91], v[106:107]
	v_add_f64 v[135:136], v[104:105], -v[108:109]
	v_add_f64 v[141:142], v[108:109], -v[104:105]
	v_add_f64 v[129:130], v[108:109], v[112:113]
	v_add_f64 v[147:148], v[110:111], v[114:115]
	v_add_f64 v[137:138], v[116:117], -v[112:113]
	v_add_f64 v[139:140], v[104:105], v[116:117]
	v_add_f64 v[155:156], v[106:107], v[118:119]
	v_add_f64 v[131:132], v[106:107], -v[118:119]
	v_add_f64 v[133:134], v[110:111], -v[114:115]
	;; [unrolled: 1-line block ×8, first 2 shown]
	v_add_f64 v[108:109], v[127:128], v[108:109]
	v_fma_f64 v[127:128], v[129:130], -0.5, v[88:89]
	v_add_f64 v[129:130], v[135:136], v[137:138]
	v_add_f64 v[110:111], v[145:146], v[110:111]
	v_fma_f64 v[137:138], v[147:148], -0.5, v[90:91]
	v_fma_f64 v[88:89], v[139:140], -0.5, v[88:89]
	;; [unrolled: 1-line block ×3, first 2 shown]
	v_add_f64 v[153:154], v[118:119], -v[114:115]
	v_add_f64 v[135:136], v[141:142], v[143:144]
	v_add_f64 v[141:142], v[106:107], v[157:158]
	;; [unrolled: 1-line block ×3, first 2 shown]
	v_fma_f64 v[108:109], v[131:132], s[18:19], v[127:128]
	v_add_f64 v[110:111], v[110:111], v[114:115]
	v_fma_f64 v[114:115], v[104:105], s[22:23], v[137:138]
	v_fma_f64 v[112:113], v[131:132], s[22:23], v[127:128]
	;; [unrolled: 1-line block ×7, first 2 shown]
	v_add_f64 v[139:140], v[151:152], v[153:154]
	v_add_f64 v[88:89], v[106:107], v[116:117]
	v_fma_f64 v[106:107], v[133:134], s[14:15], v[108:109]
	v_add_f64 v[90:91], v[110:111], v[118:119]
	v_fma_f64 v[110:111], v[149:150], s[20:21], v[114:115]
	v_fma_f64 v[108:109], v[133:134], s[20:21], v[112:113]
	;; [unrolled: 1-line block ×15, first 2 shown]
	v_addc_co_u32_e64 v123, s[0:1], 0, v159, s[2:3]
	ds_write_b128 v93, v[88:91]
	ds_write_b128 v93, v[104:107] offset:3600
	ds_write_b128 v93, v[112:115] offset:7200
	;; [unrolled: 1-line block ×4, first 2 shown]
	s_waitcnt lgkmcnt(0)
	s_barrier
	global_load_dwordx4 v[88:91], v[122:123], off offset:1616
	v_add_co_u32_e64 v124, s[4:5], s4, v95
	v_add_co_u32_e64 v126, s[6:7], s6, v95
	v_addc_co_u32_e64 v125, s[0:1], 0, v159, s[4:5]
	global_load_dwordx4 v[104:107], v[120:121], off offset:3600
	global_load_dwordx4 v[108:111], v[124:125], off offset:624
	v_addc_co_u32_e64 v127, s[0:1], 0, v159, s[6:7]
	global_load_dwordx4 v[112:115], v[126:127], off offset:128
	global_load_dwordx4 v[116:119], v[126:127], off offset:3728
	ds_read_b128 v[120:123], v93
	ds_read_b128 v[124:127], v93 offset:3600
	ds_read_b128 v[128:131], v93 offset:7200
	;; [unrolled: 1-line block ×4, first 2 shown]
	s_waitcnt vmcnt(4) lgkmcnt(4)
	v_mul_f64 v[140:141], v[122:123], v[90:91]
	v_mul_f64 v[90:91], v[120:121], v[90:91]
	s_waitcnt vmcnt(3) lgkmcnt(3)
	v_mul_f64 v[142:143], v[126:127], v[106:107]
	v_mul_f64 v[106:107], v[124:125], v[106:107]
	;; [unrolled: 3-line block ×5, first 2 shown]
	v_fma_f64 v[118:119], v[120:121], v[88:89], -v[140:141]
	v_fma_f64 v[120:121], v[122:123], v[88:89], v[90:91]
	v_fma_f64 v[88:89], v[124:125], v[104:105], -v[142:143]
	v_fma_f64 v[90:91], v[126:127], v[104:105], v[106:107]
	v_fma_f64 v[104:105], v[128:129], v[108:109], -v[144:145]
	v_fma_f64 v[106:107], v[130:131], v[108:109], v[110:111]
	v_fma_f64 v[108:109], v[132:133], v[112:113], -v[146:147]
	v_fma_f64 v[110:111], v[134:135], v[112:113], v[114:115]
	v_fma_f64 v[112:113], v[136:137], v[116:117], -v[148:149]
	v_fma_f64 v[114:115], v[138:139], v[116:117], v[150:151]
	ds_write_b128 v93, v[118:121]
	ds_write_b128 v93, v[88:91] offset:3600
	ds_write_b128 v93, v[104:107] offset:7200
	;; [unrolled: 1-line block ×4, first 2 shown]
	s_waitcnt lgkmcnt(0)
	s_barrier
	ds_read_b128 v[88:91], v93
	ds_read_b128 v[104:107], v93 offset:3600
	ds_read_b128 v[108:111], v93 offset:7200
	;; [unrolled: 1-line block ×4, first 2 shown]
	s_waitcnt lgkmcnt(0)
	v_add_f64 v[120:121], v[88:89], v[104:105]
	v_add_f64 v[128:129], v[104:105], -v[108:109]
	v_add_f64 v[122:123], v[108:109], v[112:113]
	v_add_f64 v[130:131], v[116:117], -v[112:113]
	v_add_f64 v[138:139], v[90:91], v[106:107]
	v_add_f64 v[140:141], v[110:111], v[114:115]
	;; [unrolled: 1-line block ×4, first 2 shown]
	v_add_f64 v[124:125], v[106:107], -v[118:119]
	v_add_f64 v[126:127], v[110:111], -v[114:115]
	v_add_f64 v[134:135], v[108:109], -v[104:105]
	v_add_f64 v[136:137], v[112:113], -v[116:117]
	v_add_f64 v[104:105], v[104:105], -v[116:117]
	v_add_f64 v[142:143], v[108:109], -v[112:113]
	v_add_f64 v[144:145], v[106:107], -v[110:111]
	v_add_f64 v[106:107], v[110:111], -v[106:107]
	v_add_f64 v[150:151], v[114:115], -v[118:119]
	v_add_f64 v[108:109], v[120:121], v[108:109]
	v_fma_f64 v[120:121], v[122:123], -0.5, v[88:89]
	v_add_f64 v[122:123], v[128:129], v[130:131]
	v_add_f64 v[110:111], v[138:139], v[110:111]
	v_fma_f64 v[130:131], v[140:141], -0.5, v[90:91]
	v_fma_f64 v[88:89], v[132:133], -0.5, v[88:89]
	;; [unrolled: 1-line block ×3, first 2 shown]
	v_add_f64 v[146:147], v[118:119], -v[114:115]
	v_add_f64 v[128:129], v[134:135], v[136:137]
	v_add_f64 v[134:135], v[106:107], v[150:151]
	;; [unrolled: 1-line block ×3, first 2 shown]
	v_fma_f64 v[108:109], v[124:125], s[22:23], v[120:121]
	v_add_f64 v[110:111], v[110:111], v[114:115]
	v_fma_f64 v[114:115], v[104:105], s[18:19], v[130:131]
	v_fma_f64 v[112:113], v[124:125], s[18:19], v[120:121]
	;; [unrolled: 1-line block ×7, first 2 shown]
	v_add_f64 v[132:133], v[144:145], v[146:147]
	v_add_f64 v[88:89], v[106:107], v[116:117]
	v_fma_f64 v[106:107], v[126:127], s[20:21], v[108:109]
	v_add_f64 v[90:91], v[110:111], v[118:119]
	v_fma_f64 v[110:111], v[142:143], s[14:15], v[114:115]
	v_fma_f64 v[108:109], v[126:127], s[14:15], v[112:113]
	;; [unrolled: 1-line block ×15, first 2 shown]
	s_barrier
	ds_write_b128 v96, v[88:91]
	ds_write_b128 v96, v[104:107] offset:16
	ds_write_b128 v96, v[112:115] offset:32
	;; [unrolled: 1-line block ×4, first 2 shown]
	s_waitcnt lgkmcnt(0)
	s_barrier
	ds_read_b128 v[88:91], v93 offset:3600
	ds_read_b128 v[104:107], v93
	ds_read_b128 v[108:111], v93 offset:7200
	ds_read_b128 v[112:115], v93 offset:10800
	;; [unrolled: 1-line block ×3, first 2 shown]
	s_waitcnt lgkmcnt(4)
	v_mul_f64 v[95:96], v[34:35], v[90:91]
	v_mul_f64 v[34:35], v[34:35], v[88:89]
	s_waitcnt lgkmcnt(2)
	v_mul_f64 v[120:121], v[30:31], v[110:111]
	v_mul_f64 v[30:31], v[30:31], v[108:109]
	s_waitcnt lgkmcnt(1)
	v_mul_f64 v[122:123], v[26:27], v[114:115]
	s_waitcnt lgkmcnt(0)
	v_mul_f64 v[124:125], v[22:23], v[116:117]
	v_mul_f64 v[26:27], v[26:27], v[112:113]
	;; [unrolled: 1-line block ×3, first 2 shown]
	v_fma_f64 v[88:89], v[32:33], v[88:89], v[95:96]
	v_fma_f64 v[32:33], v[32:33], v[90:91], -v[34:35]
	v_fma_f64 v[34:35], v[28:29], v[108:109], v[120:121]
	v_fma_f64 v[28:29], v[28:29], v[110:111], -v[30:31]
	;; [unrolled: 2-line block ×3, first 2 shown]
	v_fma_f64 v[24:25], v[24:25], v[114:115], -v[26:27]
	v_fma_f64 v[20:21], v[20:21], v[116:117], v[22:23]
	v_add_f64 v[22:23], v[104:105], v[88:89]
	v_add_f64 v[120:121], v[106:107], v[32:33]
	v_add_f64 v[110:111], v[88:89], -v[34:35]
	v_add_f64 v[116:117], v[34:35], -v[88:89]
	v_add_f64 v[26:27], v[34:35], v[30:31]
	v_add_f64 v[130:131], v[32:33], v[90:91]
	v_add_f64 v[122:123], v[28:29], v[24:25]
	v_add_f64 v[112:113], v[20:21], -v[30:31]
	v_add_f64 v[114:115], v[88:89], v[20:21]
	v_add_f64 v[95:96], v[32:33], -v[90:91]
	v_add_f64 v[108:109], v[28:29], -v[24:25]
	;; [unrolled: 1-line block ×7, first 2 shown]
	v_add_f64 v[22:23], v[22:23], v[34:35]
	v_fma_f64 v[26:27], v[26:27], -0.5, v[104:105]
	v_add_f64 v[34:35], v[110:111], v[112:113]
	v_add_f64 v[28:29], v[120:121], v[28:29]
	v_fma_f64 v[112:113], v[122:123], -0.5, v[106:107]
	v_add_f64 v[132:133], v[24:25], -v[90:91]
	v_fma_f64 v[104:105], v[114:115], -0.5, v[104:105]
	v_fma_f64 v[106:107], v[130:131], -0.5, v[106:107]
	v_add_f64 v[128:129], v[90:91], -v[24:25]
	v_add_f64 v[110:111], v[116:117], v[118:119]
	v_add_f64 v[22:23], v[22:23], v[30:31]
	v_fma_f64 v[30:31], v[95:96], s[22:23], v[26:27]
	v_fma_f64 v[26:27], v[95:96], s[18:19], v[26:27]
	v_add_f64 v[28:29], v[28:29], v[24:25]
	v_fma_f64 v[118:119], v[88:89], s[18:19], v[112:113]
	v_add_f64 v[116:117], v[32:33], v[132:133]
	v_fma_f64 v[32:33], v[108:109], s[18:19], v[104:105]
	v_fma_f64 v[104:105], v[108:109], s[22:23], v[104:105]
	;; [unrolled: 1-line block ×5, first 2 shown]
	v_add_f64 v[114:115], v[126:127], v[128:129]
	v_add_f64 v[24:25], v[22:23], v[20:21]
	v_fma_f64 v[20:21], v[108:109], s[20:21], v[30:31]
	v_fma_f64 v[22:23], v[108:109], s[14:15], v[26:27]
	v_add_f64 v[26:27], v[28:29], v[90:91]
	v_fma_f64 v[90:91], v[124:125], s[14:15], v[118:119]
	v_fma_f64 v[30:31], v[95:96], s[20:21], v[32:33]
	;; [unrolled: 1-line block ×14, first 2 shown]
	s_barrier
	ds_write_b128 v97, v[24:27]
	ds_write_b128 v97, v[32:35] offset:80
	ds_write_b128 v97, v[88:91] offset:160
	;; [unrolled: 1-line block ×4, first 2 shown]
	s_waitcnt lgkmcnt(0)
	s_barrier
	ds_read_b128 v[24:27], v93
	ds_read_b128 v[32:35], v93 offset:6000
	ds_read_b128 v[88:91], v93 offset:12000
	s_and_saveexec_b64 s[0:1], vcc
	s_cbranch_execz .LBB0_11
; %bb.10:
	ds_read_b128 v[20:23], v93 offset:3600
	ds_read_b128 v[28:31], v93 offset:9600
	ds_read_b128 v[84:87], v93 offset:15600
.LBB0_11:
	s_or_b64 exec, exec, s[0:1]
	s_waitcnt lgkmcnt(1)
	v_mul_f64 v[95:96], v[42:43], v[34:35]
	s_waitcnt lgkmcnt(0)
	v_mul_f64 v[104:105], v[38:39], v[90:91]
	v_mul_f64 v[42:43], v[42:43], v[32:33]
	;; [unrolled: 1-line block ×5, first 2 shown]
	s_mov_b32 s0, 0xe8584caa
	s_mov_b32 s1, 0xbfebb67a
	v_fma_f64 v[32:33], v[40:41], v[32:33], v[95:96]
	v_fma_f64 v[88:89], v[36:37], v[88:89], v[104:105]
	v_mul_f64 v[95:96], v[46:47], v[86:87]
	v_mul_f64 v[46:47], v[46:47], v[84:85]
	v_fma_f64 v[34:35], v[40:41], v[34:35], -v[42:43]
	v_fma_f64 v[38:39], v[36:37], v[90:91], -v[38:39]
	v_fma_f64 v[28:29], v[48:49], v[28:29], v[106:107]
	v_fma_f64 v[30:31], v[48:49], v[30:31], -v[50:51]
	v_add_f64 v[40:41], v[24:25], v[32:33]
	v_add_f64 v[36:37], v[32:33], v[88:89]
	v_fma_f64 v[48:49], v[44:45], v[84:85], v[95:96]
	v_fma_f64 v[44:45], v[44:45], v[86:87], -v[46:47]
	s_mov_b32 s3, 0x3febb67a
	v_add_f64 v[42:43], v[34:35], -v[38:39]
	v_add_f64 v[46:47], v[34:35], v[38:39]
	s_mov_b32 s2, s0
	v_add_f64 v[34:35], v[26:27], v[34:35]
	v_fma_f64 v[24:25], v[36:37], -0.5, v[24:25]
	v_add_f64 v[50:51], v[28:29], v[48:49]
	v_add_f64 v[86:87], v[30:31], v[44:45]
	v_add_f64 v[84:85], v[32:33], -v[88:89]
	v_add_f64 v[32:33], v[40:41], v[88:89]
	v_fma_f64 v[26:27], v[46:47], -0.5, v[26:27]
	v_add_f64 v[88:89], v[28:29], -v[48:49]
	v_add_f64 v[34:35], v[34:35], v[38:39]
	v_fma_f64 v[36:37], v[42:43], s[0:1], v[24:25]
	v_fma_f64 v[40:41], v[42:43], s[2:3], v[24:25]
	v_add_f64 v[24:25], v[20:21], v[28:29]
	v_fma_f64 v[46:47], v[50:51], -0.5, v[20:21]
	v_add_f64 v[50:51], v[30:31], -v[44:45]
	v_add_f64 v[30:31], v[22:23], v[30:31]
	v_fma_f64 v[86:87], v[86:87], -0.5, v[22:23]
	v_fma_f64 v[38:39], v[84:85], s[2:3], v[26:27]
	v_fma_f64 v[42:43], v[84:85], s[0:1], v[26:27]
	v_add_f64 v[20:21], v[24:25], v[48:49]
	s_barrier
	v_fma_f64 v[24:25], v[50:51], s[0:1], v[46:47]
	v_fma_f64 v[28:29], v[50:51], s[2:3], v[46:47]
	v_add_f64 v[22:23], v[30:31], v[44:45]
	v_fma_f64 v[26:27], v[88:89], s[2:3], v[86:87]
	v_fma_f64 v[30:31], v[88:89], s[0:1], v[86:87]
	ds_write_b128 v102, v[32:35]
	ds_write_b128 v102, v[36:39] offset:400
	ds_write_b128 v102, v[40:43] offset:800
	s_and_saveexec_b64 s[0:1], vcc
	s_cbranch_execz .LBB0_13
; %bb.12:
	s_movk_i32 s2, 0x4b
	v_mad_legacy_u16 v32, v98, s2, v99
	v_lshlrev_b32_e32 v32, 4, v32
	ds_write_b128 v32, v[20:23]
	ds_write_b128 v32, v[24:27] offset:400
	ds_write_b128 v32, v[28:31] offset:800
.LBB0_13:
	s_or_b64 exec, exec, s[0:1]
	s_waitcnt lgkmcnt(0)
	s_barrier
	ds_read_b128 v[32:35], v93
	ds_read_b128 v[40:43], v93 offset:6000
	ds_read_b128 v[36:39], v93 offset:12000
	s_and_saveexec_b64 s[0:1], vcc
	s_cbranch_execz .LBB0_15
; %bb.14:
	ds_read_b128 v[20:23], v93 offset:3600
	ds_read_b128 v[24:27], v93 offset:9600
	;; [unrolled: 1-line block ×3, first 2 shown]
.LBB0_15:
	s_or_b64 exec, exec, s[0:1]
	s_waitcnt lgkmcnt(1)
	v_mul_f64 v[44:45], v[66:67], v[42:43]
	v_mul_f64 v[46:47], v[66:67], v[40:41]
	s_waitcnt lgkmcnt(0)
	v_mul_f64 v[48:49], v[62:63], v[38:39]
	v_mul_f64 v[50:51], v[62:63], v[36:37]
	s_mov_b32 s0, 0xe8584caa
	s_mov_b32 s1, 0xbfebb67a
	s_mov_b32 s2, s0
	v_fma_f64 v[40:41], v[64:65], v[40:41], v[44:45]
	v_fma_f64 v[42:43], v[64:65], v[42:43], -v[46:47]
	v_fma_f64 v[36:37], v[60:61], v[36:37], v[48:49]
	v_fma_f64 v[38:39], v[60:61], v[38:39], -v[50:51]
	s_barrier
	v_add_f64 v[48:49], v[32:33], v[40:41]
	v_add_f64 v[44:45], v[40:41], v[36:37]
	;; [unrolled: 1-line block ×3, first 2 shown]
	v_add_f64 v[50:51], v[42:43], -v[38:39]
	v_add_f64 v[42:43], v[34:35], v[42:43]
	v_add_f64 v[60:61], v[40:41], -v[36:37]
	v_fma_f64 v[40:41], v[44:45], -0.5, v[32:33]
	v_fma_f64 v[44:45], v[46:47], -0.5, v[34:35]
	v_add_f64 v[32:33], v[48:49], v[36:37]
	v_add_f64 v[34:35], v[42:43], v[38:39]
	v_fma_f64 v[36:37], v[50:51], s[0:1], v[40:41]
	v_fma_f64 v[38:39], v[60:61], s[2:3], v[44:45]
	;; [unrolled: 1-line block ×4, first 2 shown]
	ds_write_b128 v103, v[32:35]
	ds_write_b128 v103, v[36:39] offset:1200
	ds_write_b128 v103, v[40:43] offset:2400
	s_and_saveexec_b64 s[4:5], vcc
	s_cbranch_execz .LBB0_17
; %bb.16:
	v_mul_f64 v[32:33], v[58:59], v[24:25]
	v_mul_f64 v[34:35], v[54:55], v[28:29]
	;; [unrolled: 1-line block ×4, first 2 shown]
	v_fma_f64 v[26:27], v[56:57], v[26:27], -v[32:33]
	v_fma_f64 v[30:31], v[52:53], v[30:31], -v[34:35]
	v_fma_f64 v[24:25], v[56:57], v[24:25], v[36:37]
	v_fma_f64 v[28:29], v[52:53], v[28:29], v[38:39]
	v_add_f64 v[38:39], v[22:23], v[26:27]
	v_add_f64 v[32:33], v[26:27], v[30:31]
	v_add_f64 v[40:41], v[26:27], -v[30:31]
	v_add_f64 v[34:35], v[24:25], v[28:29]
	v_add_f64 v[36:37], v[24:25], -v[28:29]
	v_add_f64 v[24:25], v[20:21], v[24:25]
	v_fma_f64 v[32:33], v[32:33], -0.5, v[22:23]
	v_add_f64 v[22:23], v[38:39], v[30:31]
	v_fma_f64 v[34:35], v[34:35], -0.5, v[20:21]
	v_add_f64 v[20:21], v[24:25], v[28:29]
	v_fma_f64 v[30:31], v[36:37], s[2:3], v[32:33]
	v_fma_f64 v[26:27], v[36:37], s[0:1], v[32:33]
	;; [unrolled: 1-line block ×4, first 2 shown]
	s_movk_i32 s0, 0xe1
	v_mad_legacy_u16 v32, v100, s0, v101
	v_lshlrev_b32_e32 v32, 4, v32
	ds_write_b128 v32, v[20:23]
	ds_write_b128 v32, v[28:31] offset:1200
	ds_write_b128 v32, v[24:27] offset:2400
.LBB0_17:
	s_or_b64 exec, exec, s[4:5]
	s_waitcnt lgkmcnt(0)
	s_barrier
	ds_read_b128 v[20:23], v93 offset:7200
	ds_read_b128 v[24:27], v93 offset:10800
	ds_read_b128 v[28:31], v93 offset:3600
	ds_read_b128 v[32:35], v93 offset:14400
	s_mov_b32 s0, 0x134454ff
	s_waitcnt lgkmcnt(3)
	v_mul_f64 v[36:37], v[78:79], v[22:23]
	s_waitcnt lgkmcnt(2)
	v_mul_f64 v[38:39], v[74:75], v[26:27]
	;; [unrolled: 2-line block ×3, first 2 shown]
	v_mul_f64 v[42:43], v[82:83], v[28:29]
	s_mov_b32 s1, 0xbfee6f0e
	s_mov_b32 s2, 0x4755a5e
	;; [unrolled: 1-line block ×4, first 2 shown]
	v_fma_f64 v[46:47], v[76:77], v[20:21], v[36:37]
	v_fma_f64 v[48:49], v[72:73], v[24:25], v[38:39]
	ds_read_b128 v[36:39], v93
	s_waitcnt lgkmcnt(1)
	v_mul_f64 v[44:45], v[70:71], v[32:33]
	v_mul_f64 v[20:21], v[78:79], v[20:21]
	;; [unrolled: 1-line block ×4, first 2 shown]
	v_fma_f64 v[28:29], v[80:81], v[28:29], v[40:41]
	v_fma_f64 v[30:31], v[80:81], v[30:31], -v[42:43]
	v_add_f64 v[40:41], v[46:47], v[48:49]
	s_mov_b32 s7, 0x3fee6f0e
	v_fma_f64 v[34:35], v[68:69], v[34:35], -v[44:45]
	v_fma_f64 v[22:23], v[76:77], v[22:23], -v[20:21]
	;; [unrolled: 1-line block ×3, first 2 shown]
	v_fma_f64 v[32:33], v[68:69], v[32:33], v[50:51]
	s_waitcnt lgkmcnt(0)
	v_add_f64 v[20:21], v[36:37], v[28:29]
	v_add_f64 v[44:45], v[28:29], -v[46:47]
	v_fma_f64 v[24:25], v[40:41], -0.5, v[36:37]
	s_mov_b32 s6, s0
	v_add_f64 v[42:43], v[30:31], -v[34:35]
	s_mov_b32 s5, 0x3fd3c6ef
	v_add_f64 v[40:41], v[22:23], -v[26:27]
	v_add_f64 v[50:51], v[32:33], -v[48:49]
	v_add_f64 v[52:53], v[28:29], v[32:33]
	v_add_f64 v[20:21], v[20:21], v[46:47]
	v_add_f64 v[62:63], v[38:39], v[30:31]
	v_add_f64 v[60:61], v[48:49], -v[32:33]
	v_fma_f64 v[54:55], v[42:43], s[0:1], v[24:25]
	v_fma_f64 v[56:57], v[42:43], s[6:7], v[24:25]
	s_mov_b32 s13, 0x3fe2cf23
	v_add_f64 v[44:45], v[44:45], v[50:51]
	v_fma_f64 v[36:37], v[52:53], -0.5, v[36:37]
	v_add_f64 v[52:53], v[22:23], v[26:27]
	v_add_f64 v[20:21], v[20:21], v[48:49]
	s_mov_b32 s12, s2
	v_fma_f64 v[50:51], v[40:41], s[2:3], v[54:55]
	v_add_f64 v[54:55], v[30:31], v[34:35]
	v_fma_f64 v[58:59], v[40:41], s[6:7], v[36:37]
	v_fma_f64 v[52:53], v[52:53], -0.5, v[38:39]
	v_add_f64 v[20:21], v[20:21], v[32:33]
	v_fma_f64 v[36:37], v[40:41], s[0:1], v[36:37]
	v_fma_f64 v[24:25], v[44:45], s[4:5], v[50:51]
	v_add_f64 v[50:51], v[46:47], -v[28:29]
	v_add_f64 v[28:29], v[28:29], -v[32:33]
	;; [unrolled: 1-line block ×3, first 2 shown]
	v_fma_f64 v[38:39], v[54:55], -0.5, v[38:39]
	v_fma_f64 v[32:33], v[40:41], s[12:13], v[56:57]
	v_add_f64 v[40:41], v[62:63], v[22:23]
	v_fma_f64 v[48:49], v[42:43], s[2:3], v[58:59]
	v_add_f64 v[56:57], v[30:31], -v[22:23]
	v_add_f64 v[58:59], v[34:35], -v[26:27]
	v_fma_f64 v[54:55], v[28:29], s[6:7], v[52:53]
	v_add_f64 v[50:51], v[50:51], v[60:61]
	v_fma_f64 v[60:61], v[46:47], s[0:1], v[38:39]
	v_add_f64 v[22:23], v[22:23], -v[30:31]
	v_add_f64 v[30:31], v[26:27], -v[34:35]
	v_fma_f64 v[38:39], v[46:47], s[6:7], v[38:39]
	v_fma_f64 v[52:53], v[28:29], s[0:1], v[52:53]
	v_add_f64 v[26:27], v[40:41], v[26:27]
	v_fma_f64 v[36:37], v[42:43], s[12:13], v[36:37]
	v_fma_f64 v[40:41], v[46:47], s[12:13], v[54:55]
	v_add_f64 v[42:43], v[56:57], v[58:59]
	v_fma_f64 v[54:55], v[28:29], s[12:13], v[60:61]
	v_add_f64 v[30:31], v[22:23], v[30:31]
	v_fma_f64 v[38:39], v[28:29], s[2:3], v[38:39]
	v_fma_f64 v[46:47], v[46:47], s[2:3], v[52:53]
	v_add_f64 v[22:23], v[26:27], v[34:35]
	v_fma_f64 v[28:29], v[44:45], s[4:5], v[32:33]
	v_fma_f64 v[32:33], v[50:51], s[4:5], v[48:49]
	;; [unrolled: 1-line block ×7, first 2 shown]
	ds_write_b128 v93, v[20:23]
	ds_write_b128 v93, v[24:27] offset:3600
	ds_write_b128 v93, v[32:35] offset:7200
	;; [unrolled: 1-line block ×4, first 2 shown]
	s_waitcnt lgkmcnt(0)
	s_barrier
	ds_read_b128 v[20:23], v93
	ds_read_b128 v[24:27], v93 offset:3600
	v_mad_u64_u32 v[28:29], s[0:1], s10, v92, 0
	s_mul_i32 s2, s9, 0xe10
	s_waitcnt lgkmcnt(1)
	v_mul_f64 v[30:31], v[18:19], v[22:23]
	v_mul_f64 v[18:19], v[18:19], v[20:21]
	s_mul_hi_u32 s3, s8, 0xe10
	s_add_i32 s2, s3, s2
	s_mul_i32 s3, s8, 0xe10
	v_mad_u64_u32 v[32:33], s[0:1], s11, v92, v[29:30]
	v_mad_u64_u32 v[33:34], s[0:1], s8, v94, 0
	v_fma_f64 v[20:21], v[16:17], v[20:21], v[30:31]
	v_fma_f64 v[18:19], v[16:17], v[22:23], -v[18:19]
	v_mov_b32_e32 v16, v34
	v_mad_u64_u32 v[22:23], s[0:1], s9, v94, v[16:17]
	s_mov_b32 s0, 0x5a912e32
	s_mov_b32 s1, 0x3f4d208a
	v_mov_b32_e32 v34, v22
	s_waitcnt lgkmcnt(0)
	v_mul_f64 v[22:23], v[10:11], v[26:27]
	v_mul_f64 v[10:11], v[10:11], v[24:25]
	v_mov_b32_e32 v29, v32
	v_mul_f64 v[16:17], v[20:21], s[0:1]
	v_mul_f64 v[18:19], v[18:19], s[0:1]
	v_lshlrev_b64 v[20:21], 4, v[28:29]
	v_mov_b32_e32 v28, s17
	v_add_co_u32_e32 v29, vcc, s16, v20
	v_fma_f64 v[22:23], v[8:9], v[24:25], v[22:23]
	v_fma_f64 v[24:25], v[8:9], v[26:27], -v[10:11]
	ds_read_b128 v[8:11], v93 offset:7200
	v_addc_co_u32_e32 v28, vcc, v28, v21, vcc
	v_lshlrev_b64 v[20:21], 4, v[33:34]
	v_add_co_u32_e32 v26, vcc, v29, v20
	v_addc_co_u32_e32 v27, vcc, v28, v21, vcc
	global_store_dwordx4 v[26:27], v[16:19], off
	s_nop 0
	v_mul_f64 v[16:17], v[22:23], s[0:1]
	ds_read_b128 v[20:23], v93 offset:10800
	s_waitcnt lgkmcnt(1)
	v_mul_f64 v[28:29], v[6:7], v[10:11]
	v_mul_f64 v[6:7], v[6:7], v[8:9]
	;; [unrolled: 1-line block ×3, first 2 shown]
	v_mov_b32_e32 v25, s2
	v_add_co_u32_e32 v24, vcc, s3, v26
	v_addc_co_u32_e32 v25, vcc, v27, v25, vcc
	v_fma_f64 v[8:9], v[4:5], v[8:9], v[28:29]
	v_fma_f64 v[10:11], v[4:5], v[10:11], -v[6:7]
	ds_read_b128 v[4:7], v93 offset:14400
	s_waitcnt lgkmcnt(1)
	v_mul_f64 v[26:27], v[2:3], v[22:23]
	v_mul_f64 v[2:3], v[2:3], v[20:21]
	global_store_dwordx4 v[24:25], v[16:19], off
	s_waitcnt lgkmcnt(0)
	v_mul_f64 v[28:29], v[14:15], v[6:7]
	v_mul_f64 v[14:15], v[14:15], v[4:5]
	v_mul_f64 v[8:9], v[8:9], s[0:1]
	v_mul_f64 v[10:11], v[10:11], s[0:1]
	v_fma_f64 v[16:17], v[0:1], v[20:21], v[26:27]
	v_fma_f64 v[2:3], v[0:1], v[22:23], -v[2:3]
	v_mov_b32_e32 v18, s2
	v_fma_f64 v[4:5], v[12:13], v[4:5], v[28:29]
	v_fma_f64 v[6:7], v[12:13], v[6:7], -v[14:15]
	v_add_co_u32_e32 v12, vcc, s3, v24
	v_mul_f64 v[0:1], v[16:17], s[0:1]
	v_mul_f64 v[2:3], v[2:3], s[0:1]
	v_addc_co_u32_e32 v13, vcc, v25, v18, vcc
	v_mul_f64 v[4:5], v[4:5], s[0:1]
	v_mul_f64 v[6:7], v[6:7], s[0:1]
	global_store_dwordx4 v[12:13], v[8:11], off
	s_nop 0
	v_mov_b32_e32 v9, s2
	v_add_co_u32_e32 v8, vcc, s3, v12
	v_addc_co_u32_e32 v9, vcc, v13, v9, vcc
	global_store_dwordx4 v[8:9], v[0:3], off
	s_nop 0
	v_mov_b32_e32 v1, s2
	v_add_co_u32_e32 v0, vcc, s3, v8
	v_addc_co_u32_e32 v1, vcc, v9, v1, vcc
	global_store_dwordx4 v[0:1], v[4:7], off
.LBB0_18:
	s_endpgm
	.section	.rodata,"a",@progbits
	.p2align	6, 0x0
	.amdhsa_kernel bluestein_single_back_len1125_dim1_dp_op_CI_CI
		.amdhsa_group_segment_fixed_size 18000
		.amdhsa_private_segment_fixed_size 0
		.amdhsa_kernarg_size 104
		.amdhsa_user_sgpr_count 6
		.amdhsa_user_sgpr_private_segment_buffer 1
		.amdhsa_user_sgpr_dispatch_ptr 0
		.amdhsa_user_sgpr_queue_ptr 0
		.amdhsa_user_sgpr_kernarg_segment_ptr 1
		.amdhsa_user_sgpr_dispatch_id 0
		.amdhsa_user_sgpr_flat_scratch_init 0
		.amdhsa_user_sgpr_private_segment_size 0
		.amdhsa_uses_dynamic_stack 0
		.amdhsa_system_sgpr_private_segment_wavefront_offset 0
		.amdhsa_system_sgpr_workgroup_id_x 1
		.amdhsa_system_sgpr_workgroup_id_y 0
		.amdhsa_system_sgpr_workgroup_id_z 0
		.amdhsa_system_sgpr_workgroup_info 0
		.amdhsa_system_vgpr_workitem_id 0
		.amdhsa_next_free_vgpr 160
		.amdhsa_next_free_sgpr 26
		.amdhsa_reserve_vcc 1
		.amdhsa_reserve_flat_scratch 0
		.amdhsa_float_round_mode_32 0
		.amdhsa_float_round_mode_16_64 0
		.amdhsa_float_denorm_mode_32 3
		.amdhsa_float_denorm_mode_16_64 3
		.amdhsa_dx10_clamp 1
		.amdhsa_ieee_mode 1
		.amdhsa_fp16_overflow 0
		.amdhsa_exception_fp_ieee_invalid_op 0
		.amdhsa_exception_fp_denorm_src 0
		.amdhsa_exception_fp_ieee_div_zero 0
		.amdhsa_exception_fp_ieee_overflow 0
		.amdhsa_exception_fp_ieee_underflow 0
		.amdhsa_exception_fp_ieee_inexact 0
		.amdhsa_exception_int_div_zero 0
	.end_amdhsa_kernel
	.text
.Lfunc_end0:
	.size	bluestein_single_back_len1125_dim1_dp_op_CI_CI, .Lfunc_end0-bluestein_single_back_len1125_dim1_dp_op_CI_CI
                                        ; -- End function
	.section	.AMDGPU.csdata,"",@progbits
; Kernel info:
; codeLenInByte = 8164
; NumSgprs: 30
; NumVgprs: 160
; ScratchSize: 0
; MemoryBound: 0
; FloatMode: 240
; IeeeMode: 1
; LDSByteSize: 18000 bytes/workgroup (compile time only)
; SGPRBlocks: 3
; VGPRBlocks: 39
; NumSGPRsForWavesPerEU: 30
; NumVGPRsForWavesPerEU: 160
; Occupancy: 1
; WaveLimiterHint : 1
; COMPUTE_PGM_RSRC2:SCRATCH_EN: 0
; COMPUTE_PGM_RSRC2:USER_SGPR: 6
; COMPUTE_PGM_RSRC2:TRAP_HANDLER: 0
; COMPUTE_PGM_RSRC2:TGID_X_EN: 1
; COMPUTE_PGM_RSRC2:TGID_Y_EN: 0
; COMPUTE_PGM_RSRC2:TGID_Z_EN: 0
; COMPUTE_PGM_RSRC2:TIDIG_COMP_CNT: 0
	.type	__hip_cuid_53b4ec30cce7bd1e,@object ; @__hip_cuid_53b4ec30cce7bd1e
	.section	.bss,"aw",@nobits
	.globl	__hip_cuid_53b4ec30cce7bd1e
__hip_cuid_53b4ec30cce7bd1e:
	.byte	0                               ; 0x0
	.size	__hip_cuid_53b4ec30cce7bd1e, 1

	.ident	"AMD clang version 19.0.0git (https://github.com/RadeonOpenCompute/llvm-project roc-6.4.0 25133 c7fe45cf4b819c5991fe208aaa96edf142730f1d)"
	.section	".note.GNU-stack","",@progbits
	.addrsig
	.addrsig_sym __hip_cuid_53b4ec30cce7bd1e
	.amdgpu_metadata
---
amdhsa.kernels:
  - .args:
      - .actual_access:  read_only
        .address_space:  global
        .offset:         0
        .size:           8
        .value_kind:     global_buffer
      - .actual_access:  read_only
        .address_space:  global
        .offset:         8
        .size:           8
        .value_kind:     global_buffer
      - .actual_access:  read_only
        .address_space:  global
        .offset:         16
        .size:           8
        .value_kind:     global_buffer
      - .actual_access:  read_only
        .address_space:  global
        .offset:         24
        .size:           8
        .value_kind:     global_buffer
      - .actual_access:  read_only
        .address_space:  global
        .offset:         32
        .size:           8
        .value_kind:     global_buffer
      - .offset:         40
        .size:           8
        .value_kind:     by_value
      - .address_space:  global
        .offset:         48
        .size:           8
        .value_kind:     global_buffer
      - .address_space:  global
        .offset:         56
        .size:           8
        .value_kind:     global_buffer
      - .address_space:  global
        .offset:         64
        .size:           8
        .value_kind:     global_buffer
      - .address_space:  global
        .offset:         72
        .size:           8
        .value_kind:     global_buffer
      - .offset:         80
        .size:           4
        .value_kind:     by_value
      - .address_space:  global
        .offset:         88
        .size:           8
        .value_kind:     global_buffer
      - .address_space:  global
        .offset:         96
        .size:           8
        .value_kind:     global_buffer
    .group_segment_fixed_size: 18000
    .kernarg_segment_align: 8
    .kernarg_segment_size: 104
    .language:       OpenCL C
    .language_version:
      - 2
      - 0
    .max_flat_workgroup_size: 225
    .name:           bluestein_single_back_len1125_dim1_dp_op_CI_CI
    .private_segment_fixed_size: 0
    .sgpr_count:     30
    .sgpr_spill_count: 0
    .symbol:         bluestein_single_back_len1125_dim1_dp_op_CI_CI.kd
    .uniform_work_group_size: 1
    .uses_dynamic_stack: false
    .vgpr_count:     160
    .vgpr_spill_count: 0
    .wavefront_size: 64
amdhsa.target:   amdgcn-amd-amdhsa--gfx906
amdhsa.version:
  - 1
  - 2
...

	.end_amdgpu_metadata
